;; amdgpu-corpus repo=ROCm/rocFFT kind=compiled arch=gfx950 opt=O3
	.text
	.amdgcn_target "amdgcn-amd-amdhsa--gfx950"
	.amdhsa_code_object_version 6
	.protected	bluestein_single_fwd_len96_dim1_sp_op_CI_CI ; -- Begin function bluestein_single_fwd_len96_dim1_sp_op_CI_CI
	.globl	bluestein_single_fwd_len96_dim1_sp_op_CI_CI
	.p2align	8
	.type	bluestein_single_fwd_len96_dim1_sp_op_CI_CI,@function
bluestein_single_fwd_len96_dim1_sp_op_CI_CI: ; @bluestein_single_fwd_len96_dim1_sp_op_CI_CI
; %bb.0:
	s_load_dwordx4 s[12:15], s[0:1], 0x28
	v_lshrrev_b32_e32 v1, 4, v0
	v_mov_b32_e32 v71, 0
	v_lshl_or_b32 v62, s2, 3, v1
	v_mov_b32_e32 v63, v71
	s_waitcnt lgkmcnt(0)
	v_cmp_gt_u64_e32 vcc, s[12:13], v[62:63]
	s_and_saveexec_b64 s[2:3], vcc
	s_cbranch_execz .LBB0_14
; %bb.1:
	s_load_dwordx4 s[4:7], s[0:1], 0x18
	s_load_dwordx4 s[8:11], s[0:1], 0x0
	v_and_b32_e32 v63, 15, v0
	v_mov_b32_e32 v2, s14
	v_mov_b32_e32 v3, s15
	s_waitcnt lgkmcnt(0)
	s_load_dwordx4 s[16:19], s[4:5], 0x0
	v_lshlrev_b32_e32 v70, 3, v63
	v_mul_u32_u24_e32 v103, 0x60, v1
	v_lshl_or_b32 v100, v103, 3, v70
	v_cmp_gt_u32_e32 vcc, 6, v63
	s_waitcnt lgkmcnt(0)
	v_mad_u64_u32 v[4:5], s[2:3], s18, v62, 0
	v_mad_u64_u32 v[6:7], s[2:3], s16, v63, 0
	v_mov_b32_e32 v0, v5
	v_mad_u64_u32 v[8:9], s[2:3], s19, v62, v[0:1]
	v_mov_b32_e32 v0, v7
	v_mov_b32_e32 v5, v8
	v_mad_u64_u32 v[8:9], s[2:3], s17, v63, v[0:1]
	v_mov_b32_e32 v7, v8
	v_lshl_add_u64 v[2:3], v[4:5], 3, v[2:3]
	v_lshl_add_u64 v[2:3], v[6:7], 3, v[2:3]
	s_lshl_b64 s[2:3], s[16:17], 7
	global_load_dwordx2 v[68:69], v70, s[8:9]
	global_load_dwordx2 v[4:5], v[2:3], off
	v_lshl_add_u64 v[2:3], v[2:3], 0, s[2:3]
	global_load_dwordx2 v[6:7], v[2:3], off
	global_load_dwordx2 v[66:67], v70, s[8:9] offset:128
	v_lshl_add_u64 v[2:3], v[2:3], 0, s[2:3]
	global_load_dwordx2 v[64:65], v70, s[8:9] offset:256
	global_load_dwordx2 v[8:9], v[2:3], off
	v_lshl_add_u64 v[2:3], v[2:3], 0, s[2:3]
	global_load_dwordx2 v[10:11], v[2:3], off
	global_load_dwordx2 v[60:61], v70, s[8:9] offset:384
	v_lshl_add_u64 v[2:3], v[2:3], 0, s[2:3]
	global_load_dwordx2 v[12:13], v[2:3], off
	global_load_dwordx2 v[58:59], v70, s[8:9] offset:512
	global_load_dwordx2 v[56:57], v70, s[8:9] offset:640
	v_lshl_add_u64 v[2:3], v[2:3], 0, s[2:3]
	global_load_dwordx2 v[2:3], v[2:3], off
	v_or_b32_e32 v0, v103, v63
	v_lshlrev_b32_e32 v101, 3, v0
	s_load_dwordx4 s[4:7], s[6:7], 0x0
                                        ; implicit-def: $vgpr80_vgpr81
	s_waitcnt vmcnt(10)
	v_mul_f32_e32 v0, v5, v69
	v_mul_f32_e32 v1, v4, v69
	v_fmac_f32_e32 v0, v4, v68
	v_fma_f32 v1, v5, v68, -v1
	s_waitcnt vmcnt(8)
	v_mul_f32_e32 v4, v7, v67
	v_mul_f32_e32 v5, v6, v67
	v_fmac_f32_e32 v4, v6, v66
	v_fma_f32 v5, v7, v66, -v5
	s_waitcnt vmcnt(6)
	v_mul_f32_e32 v6, v9, v65
	v_mul_f32_e32 v7, v8, v65
	ds_write2_b64 v101, v[0:1], v[4:5] offset1:16
	s_waitcnt vmcnt(4)
	v_mul_f32_e32 v0, v11, v61
	v_mul_f32_e32 v1, v10, v61
	v_fmac_f32_e32 v6, v8, v64
	v_fma_f32 v7, v9, v64, -v7
	v_fmac_f32_e32 v0, v10, v60
	v_fma_f32 v1, v11, v60, -v1
	s_waitcnt vmcnt(2)
	v_mul_f32_e32 v4, v13, v59
	v_mul_f32_e32 v5, v12, v59
	ds_write2_b64 v100, v[6:7], v[0:1] offset0:32 offset1:48
	s_waitcnt vmcnt(0)
	v_mul_f32_e32 v0, v3, v57
	v_mul_f32_e32 v1, v2, v57
	v_fmac_f32_e32 v4, v12, v58
	v_fma_f32 v5, v13, v58, -v5
	v_fmac_f32_e32 v0, v2, v56
	v_fma_f32 v1, v3, v56, -v1
	ds_write2_b64 v100, v[4:5], v[0:1] offset0:64 offset1:80
	s_waitcnt lgkmcnt(0)
	s_barrier
	ds_read2_b64 v[0:3], v100 offset0:32 offset1:48
	ds_read2_b64 v[4:7], v100 offset0:64 offset1:80
	ds_read2_b64 v[8:11], v101 offset1:16
	s_load_dwordx2 s[2:3], s[0:1], 0x38
	s_mov_b32 s0, 0x3f5db3d7
	s_mov_b32 s1, 0xbf5db3d7
	s_waitcnt lgkmcnt(0)
	v_pk_add_f32 v[12:13], v[0:1], v[4:5]
	v_pk_add_f32 v[14:15], v[0:1], v[4:5] neg_lo:[0,1] neg_hi:[0,1]
	v_pk_add_f32 v[16:17], v[2:3], v[6:7]
	v_pk_add_f32 v[18:19], v[2:3], v[6:7] neg_lo:[0,1] neg_hi:[0,1]
	v_pk_add_f32 v[0:1], v[8:9], v[0:1]
	v_pk_add_f32 v[2:3], v[10:11], v[2:3]
	v_pk_fma_f32 v[8:9], v[12:13], 0.5, v[8:9] op_sel_hi:[1,0,1] neg_lo:[1,0,0] neg_hi:[1,0,0]
	v_pk_mul_f32 v[12:13], v[14:15], s[0:1] op_sel_hi:[1,0]
	v_pk_fma_f32 v[10:11], v[16:17], 0.5, v[10:11] op_sel_hi:[1,0,1] neg_lo:[1,0,0] neg_hi:[1,0,0]
	v_pk_add_f32 v[2:3], v[2:3], v[6:7]
	v_pk_add_f32 v[6:7], v[8:9], v[12:13] op_sel:[0,1] op_sel_hi:[1,0] neg_lo:[0,1] neg_hi:[0,1]
	v_pk_add_f32 v[14:15], v[8:9], v[12:13] op_sel:[0,1] op_sel_hi:[1,0]
	v_pk_fma_f32 v[16:17], v[18:19], s[0:1], v[10:11] op_sel:[0,0,1] op_sel_hi:[1,0,0]
	v_pk_fma_f32 v[10:11], v[18:19], s[0:1], v[10:11] op_sel:[0,0,1] op_sel_hi:[1,0,0] neg_lo:[1,0,0] neg_hi:[1,0,0]
	v_pk_add_f32 v[0:1], v[0:1], v[4:5]
	v_mov_b32_e32 v4, v13
	v_mov_b32_e32 v14, v9
	;; [unrolled: 1-line block ×5, first 2 shown]
	v_mul_f32_e32 v9, 0.5, v17
	v_mul_f32_e32 v5, 0x3f5db3d7, v10
	v_mul_f32_e32 v13, 0x3f5db3d7, v17
	v_mul_f32_e32 v15, 0.5, v10
	v_pk_add_f32 v[4:5], v[8:9], v[4:5]
	v_pk_add_f32 v[8:9], v[14:15], v[12:13] neg_lo:[0,1] neg_hi:[0,1]
	v_pk_mul_f32 v[10:11], v[18:19], 0.5 op_sel_hi:[1,0]
	v_mov_b32_e32 v12, v4
	v_pk_fma_f32 v[10:11], v[18:19], s[0:1], v[10:11] op_sel:[0,0,1] op_sel_hi:[1,1,0] neg_lo:[0,0,1] neg_hi:[0,0,1]
	v_mov_b32_e32 v13, v8
	v_mov_b32_e32 v8, v5
	v_mul_u32_u24_e32 v4, 6, v63
	v_pk_add_f32 v[28:29], v[0:1], v[2:3]
	v_pk_add_f32 v[44:45], v[6:7], v[10:11]
	v_pk_add_f32 v[48:49], v[12:13], v[8:9] neg_lo:[0,1] neg_hi:[0,1]
	v_pk_add_f32 v[50:51], v[6:7], v[10:11] neg_lo:[0,1] neg_hi:[0,1]
	v_add_lshl_u32 v102, v103, v4, 3
	v_pk_add_f32 v[30:31], v[12:13], v[8:9]
	v_pk_add_f32 v[46:47], v[0:1], v[2:3] neg_lo:[0,1] neg_hi:[0,1]
	v_cmp_lt_u32_e64 s[0:1], 5, v63
	s_barrier
	ds_write_b128 v102, v[28:31]
	ds_write_b128 v102, v[44:47] offset:16
	ds_write_b128 v102, v[48:51] offset:32
	s_waitcnt lgkmcnt(0)
	s_barrier
	s_and_saveexec_b64 s[12:13], s[0:1]
	s_xor_b64 s[12:13], exec, s[12:13]
; %bb.2:
	v_mov_b32_e32 v80, v31
	v_mov_b32_e32 v81, v46
	;; [unrolled: 1-line block ×3, first 2 shown]
; %bb.3:
	s_or_saveexec_b64 s[12:13], s[12:13]
                                        ; implicit-def: $vgpr46
                                        ; implicit-def: $vgpr36
                                        ; implicit-def: $vgpr82
                                        ; implicit-def: $vgpr42
                                        ; implicit-def: $vgpr34
                                        ; implicit-def: $vgpr54
	s_xor_b64 exec, exec, s[12:13]
	s_cbranch_execz .LBB0_5
; %bb.4:
	ds_read2_b64 v[28:31], v101 offset1:6
	ds_read2_b64 v[44:47], v101 offset0:12 offset1:18
	ds_read2_b64 v[48:51], v101 offset0:24 offset1:30
	;; [unrolled: 1-line block ×7, first 2 shown]
	s_waitcnt lgkmcnt(7)
	v_mov_b32_e32 v80, v31
	s_waitcnt lgkmcnt(6)
	v_mov_b32_e32 v81, v46
	v_mov_b32_e32 v31, v47
	s_waitcnt lgkmcnt(3)
	v_mov_b32_e32 v46, v37
	s_waitcnt lgkmcnt(2)
	v_mov_b32_e32 v47, v0
	v_mov_b32_e32 v37, v1
	;; [unrolled: 1-line block ×5, first 2 shown]
.LBB0_5:
	s_or_b64 exec, exec, s[12:13]
	v_mul_lo_u16_e32 v0, 43, v63
	v_mov_b32_e32 v1, 6
	v_mul_lo_u16_sdwa v0, v0, v1 dst_sel:DWORD dst_unused:UNUSED_PAD src0_sel:BYTE_1 src1_sel:DWORD
	v_sub_u16_e32 v0, v63, v0
	v_mul_lo_u16_e32 v0, 15, v0
	v_mov_b32_e32 v1, 3
	v_lshlrev_b32_sdwa v74, v1, v0 dst_sel:DWORD dst_unused:UNUSED_PAD src0_sel:DWORD src1_sel:BYTE_0
	global_load_dwordx4 v[0:3], v74, s[10:11]
	global_load_dwordx4 v[8:11], v74, s[10:11] offset:16
	global_load_dwordx4 v[4:7], v74, s[10:11] offset:32
	;; [unrolled: 1-line block ×6, first 2 shown]
	global_load_dwordx2 v[72:73], v74, s[10:11] offset:112
	v_mov_b32_e32 v86, v51
	s_waitcnt lgkmcnt(1)
	v_mov_b32_e32 v88, v35
	v_mov_b32_e32 v84, v45
	s_mov_b32 s10, 0x3f6c835e
	s_mov_b32 s11, 0x3f3504f3
	;; [unrolled: 1-line block ×5, first 2 shown]
	s_waitcnt vmcnt(7)
	v_pk_mul_f32 v[76:77], v[44:45], v[2:3]
	s_waitcnt vmcnt(6)
	v_pk_mul_f32 v[92:93], v[48:49], v[10:11]
	;; [unrolled: 2-line block ×3, first 2 shown]
	v_pk_mul_f32 v[74:75], v[52:53], v[6:7] op_sel_hi:[0,1]
	v_mov_b32_e32 v92, v5
	s_waitcnt vmcnt(4)
	v_mul_f32_e32 v125, v55, v12
	s_waitcnt vmcnt(3)
	v_mov_b32_e32 v74, v17
	v_mov_b32_e32 v106, v1
	;; [unrolled: 1-line block ×3, first 2 shown]
	s_waitcnt vmcnt(2)
	v_pk_mul_f32 v[108:109], v[32:33], v[26:27]
	s_waitcnt vmcnt(1)
	v_mov_b32_e32 v94, v21
	v_mov_b32_e32 v116, v15
	;; [unrolled: 1-line block ×3, first 2 shown]
	v_pk_mul_f32 v[118:119], v[34:35], v[20:21]
	v_mov_b32_e32 v90, v1
	v_mov_b32_e32 v76, v3
	v_mul_f32_e32 v124, v31, v8
	v_mov_b32_e32 v78, v11
	v_mov_b32_e32 v79, v10
	v_pk_mul_f32 v[96:97], v[52:53], v[6:7]
	v_pk_mul_f32 v[98:99], v[54:55], v[12:13]
	v_mov_b32_e32 v104, v0
	v_mov_b32_e32 v105, v8
	v_mov_b32_e32 v110, v14
	v_mov_b32_e32 v111, v18
	v_mov_b32_e32 v114, v17
	v_mov_b32_e32 v115, v25
	v_mov_b32_e32 v108, v93
	v_mov_b32_e32 v118, v95
	v_pk_mul_f32 v[92:93], v[50:51], v[92:93]
	v_fmac_f32_e32 v125, v54, v13
	v_pk_mul_f32 v[54:55], v[30:31], v[106:107]
	v_pk_mul_f32 v[94:95], v[34:35], v[94:95]
	;; [unrolled: 1-line block ×4, first 2 shown]
	v_mov_b32_e32 v85, v6
	v_mul_f32_e32 v126, v39, v24
	v_mov_b32_e32 v112, v16
	v_mov_b32_e32 v113, v24
	s_waitcnt lgkmcnt(0)
	v_pk_mul_f32 v[120:121], v[40:41], v[22:23]
	v_mov_b32_e32 v96, v77
	v_pk_mul_f32 v[122:123], v[44:45], v[76:77]
	v_pk_mul_f32 v[76:77], v[48:49], v[78:79]
	;; [unrolled: 1-line block ×3, first 2 shown]
	v_fmac_f32_e32 v124, v81, v9
	v_pk_mul_f32 v[114:115], v[38:39], v[114:115]
	v_sub_f32_e32 v127, v98, v99
	v_mov_b32_e32 v74, v109
	v_pk_fma_f32 v[48:49], v[48:49], v[10:11], v[108:109] neg_lo:[0,0,1] neg_hi:[0,0,1]
	v_pk_fma_f32 v[98:99], v[50:51], v[4:5], v[118:119] neg_lo:[0,0,1] neg_hi:[0,0,1]
	v_pk_fma_f32 v[108:109], v[80:81], v[104:105], v[54:55]
	v_pk_fma_f32 v[104:105], v[80:81], v[104:105], v[54:55] neg_lo:[0,0,1] neg_hi:[0,0,1]
	v_pk_fma_f32 v[50:51], v[86:87], v[4:5], v[92:93]
	v_pk_fma_f32 v[54:55], v[88:89], v[20:21], v[94:95] op_sel_hi:[0,1,1]
	v_pk_fma_f32 v[80:81], v[46:47], v[110:111], v[116:117] neg_lo:[0,0,1] neg_hi:[0,0,1]
	v_pk_fma_f32 v[88:89], v[46:47], v[14:15], v[116:117]
	v_pk_fma_f32 v[38:39], v[38:39], v[16:17], v[106:107] neg_lo:[0,0,1] neg_hi:[0,0,1]
	v_mov_b32_e32 v120, v97
	v_pk_mul_f32 v[78:79], v[52:53], v[84:85]
	v_pk_fma_f32 v[96:97], v[44:45], v[2:3], v[96:97] neg_lo:[0,0,1] neg_hi:[0,0,1]
	v_pk_fma_f32 v[44:45], v[84:85], v[2:3], v[122:123]
	v_pk_fma_f32 v[84:85], v[82:83], v[112:113], v[114:115] neg_lo:[0,0,1] neg_hi:[0,0,1]
	v_pk_fma_f32 v[86:87], v[82:83], v[16:17], v[114:115]
	v_pk_fma_f32 v[90:91], v[30:31], v[0:1], v[90:91] neg_lo:[0,0,1] neg_hi:[0,0,1]
	v_mov_b32_e32 v89, v81
	v_pk_add_f32 v[80:81], v[50:51], v[54:55] neg_lo:[0,1] neg_hi:[0,1]
	v_mov_b32_e32 v39, 2.0
	v_mov_b32_e32 v78, v119
	v_pk_fma_f32 v[30:31], v[32:33], v[26:27], v[74:75] neg_lo:[0,0,1] neg_hi:[0,0,1]
	v_fma_f32 v74, v50, 2.0, -v80
	v_mov_b32_e32 v87, v85
	s_waitcnt vmcnt(0)
	v_pk_mul_f32 v[84:85], v[42:43], v[72:73]
	v_pk_add_f32 v[50:51], v[90:91], v[38:39] op_sel_hi:[0,1] neg_lo:[0,1] neg_hi:[0,1]
	v_mul_f32_e32 v43, v43, v72
	v_fmac_f32_e32 v126, v83, v25
	v_pk_fma_f32 v[92:93], v[34:35], v[20:21], v[78:79] neg_lo:[0,0,1] neg_hi:[0,0,1]
	v_mov_b32_e32 v34, v121
	v_sub_f32_e32 v51, v84, v85
	v_fmac_f32_e32 v43, v42, v73
	v_pk_fma_f32 v[52:53], v[52:53], v[6:7], v[120:121] neg_lo:[0,0,1] neg_hi:[0,0,1]
	v_pk_fma_f32 v[54:55], v[40:41], v[22:23], v[34:35] neg_lo:[0,0,1] neg_hi:[0,0,1]
	v_pk_add_f32 v[82:83], v[48:49], v[30:31] neg_lo:[0,1] neg_hi:[0,1]
	v_mov_b32_e32 v31, v96
	v_mov_b32_e32 v30, v29
	v_sub_f32_e32 v34, v124, v126
	v_sub_f32_e32 v51, v127, v51
	;; [unrolled: 1-line block ×3, first 2 shown]
	v_pk_add_f32 v[30:31], v[30:31], v[88:89] neg_lo:[0,1] neg_hi:[0,1]
	v_pk_mul_f32 v[88:89], v[90:91], v[38:39] op_sel_hi:[0,1]
	v_fma_f32 v35, v48, 2.0, -v82
	v_pk_add_f32 v[38:39], v[52:53], v[54:55] neg_lo:[0,1] neg_hi:[0,1]
	v_fma_f32 v48, v124, 2.0, -v34
	v_fma_f32 v53, v127, 2.0, -v51
	v_add_f32_e32 v51, v34, v51
	v_fma_f32 v42, v125, 2.0, -v78
	v_mov_b32_e32 v109, v105
	v_fma_f32 v39, v52, 2.0, -v38
	v_pk_add_f32 v[54:55], v[98:99], v[92:93] neg_lo:[0,1] neg_hi:[0,1]
	v_fma_f32 v34, v34, 2.0, -v51
	v_mul_f32_e32 v52, 0x3f3504f3, v51
	v_sub_f32_e32 v84, v48, v42
	v_mov_b32_e32 v51, v89
	v_pk_add_f32 v[42:43], v[108:109], v[86:87] neg_lo:[0,1] neg_hi:[0,1]
	v_mov_b32_e32 v85, v36
	v_mov_b32_e32 v36, v41
	;; [unrolled: 1-line block ×6, first 2 shown]
	v_add_f32_e32 v55, v105, v105
	v_pk_mul_f32 v[86:87], v[40:41], v[86:87]
	v_pk_add_f32 v[88:89], v[50:51], v[80:81] neg_lo:[0,1] neg_hi:[0,1]
	v_mov_b32_e32 v80, v22
	v_mov_b32_e32 v81, v18
	v_sub_f32_e32 v47, v43, v78
	v_pk_fma_f32 v[90:91], v[36:37], v[80:81], v[86:87]
	v_pk_add_f32 v[80:81], v[54:55], v[42:43]
	v_pk_add_f32 v[94:95], v[54:55], v[42:43] neg_lo:[0,1] neg_hi:[0,1]
	v_add_f32_e32 v83, v96, v96
	v_fma_f32 v49, v98, 2.0, -v54
	v_fma_f32 v96, v48, 2.0, -v84
	;; [unrolled: 1-line block ×3, first 2 shown]
	v_mul_f32_e32 v48, 0x3f3504f3, v47
	v_mov_b32_e32 v94, v80
	v_sub_f32_e32 v74, v97, v74
	v_pk_add_f32 v[36:37], v[88:89], v[48:49]
	v_pk_add_f32 v[92:93], v[88:89], v[48:49] neg_lo:[0,1] neg_hi:[0,1]
	v_fma_f32 v54, v50, 2.0, -v88
	v_fma_f32 v55, v42, 2.0, -v80
	v_pk_add_f32 v[50:51], v[80:81], v[52:53]
	v_fma_f32 v78, v43, 2.0, -v47
	v_pk_add_f32 v[42:43], v[94:95], v[52:53] neg_lo:[0,1] neg_hi:[0,1]
	v_mov_b32_e32 v37, v93
	v_mov_b32_e32 v53, v84
	;; [unrolled: 1-line block ×4, first 2 shown]
	v_pk_add_f32 v[36:37], v[36:37], v[52:53] neg_lo:[0,1] neg_hi:[0,1]
	v_pk_add_f32 v[52:53], v[48:49], v[50:51]
	v_fmamk_f32 v51, v78, 0xbf3504f3, v54
	v_fma_f32 v47, v89, 2.0, -v93
	v_fmac_f32_e32 v51, 0xbf3504f3, v34
	v_fmamk_f32 v34, v34, 0xbf3504f3, v55
	v_mov_b32_e32 v89, v93
	v_fma_f32 v42, v97, 2.0, -v74
	v_fmac_f32_e32 v34, 0x3f3504f3, v78
	v_pk_fma_f32 v[48:49], v[88:89], 2.0, v[36:37] op_sel_hi:[1,0,1] neg_lo:[0,0,1] neg_hi:[0,0,1]
	v_mov_b32_e32 v84, v33
	v_mov_b32_e32 v33, v46
	;; [unrolled: 1-line block ×6, first 2 shown]
	v_fma_f32 v87, v95, 2.0, -v43
	v_sub_f32_e32 v43, v42, v96
	v_pk_mul_f32 v[88:89], v[32:33], v[88:89]
	v_mov_b32_e32 v96, v26
	v_mov_b32_e32 v97, v14
	v_pk_add_f32 v[76:77], v[78:79], v[76:77]
	v_pk_fma_f32 v[96:97], v[84:85], v[96:97], v[88:89] neg_lo:[0,0,1] neg_hi:[0,0,1]
	v_pk_fma_f32 v[84:85], v[84:85], v[26:27], v[88:89]
	v_mov_b32_e32 v89, v44
	v_mov_b32_e32 v88, v77
	v_pk_add_f32 v[88:89], v[88:89], v[90:91] neg_lo:[0,1] neg_hi:[0,1]
	v_mov_b32_e32 v90, v31
	v_mov_b32_e32 v91, v38
	v_pk_add_f32 v[40:41], v[82:83], v[30:31]
	v_pk_add_f32 v[82:83], v[82:83], v[30:31] neg_lo:[0,1] neg_hi:[0,1]
	v_mov_b32_e32 v85, v97
	v_pk_add_f32 v[96:97], v[90:91], v[88:89] neg_lo:[0,1] neg_hi:[0,1]
	v_pk_add_f32 v[90:91], v[90:91], v[88:89]
	v_add_f32_e32 v45, v28, v28
	v_mul_f32_e32 v82, 0x3f6c835e, v51
	v_mov_b32_e32 v78, v29
	v_mul_f32_e32 v38, 0x3f3504f3, v91
	v_mov_b32_e32 v29, v28
	v_mov_b32_e32 v28, v76
	;; [unrolled: 1-line block ×3, first 2 shown]
	v_pk_add_f32 v[90:91], v[82:83], v[38:39] neg_lo:[0,1] neg_hi:[0,1]
	v_pk_add_f32 v[28:29], v[28:29], v[84:85] neg_lo:[0,1] neg_hi:[0,1]
	v_mov_b32_e32 v79, v44
	v_mov_b32_e32 v90, v31
	;; [unrolled: 1-line block ×6, first 2 shown]
	v_fma_f32 v50, v42, 2.0, -v43
	v_fma_f32 v80, v55, 2.0, -v34
	v_mul_f32_e32 v86, 0x3ec3ef15, v34
	v_mul_f32_e32 v42, 0x3f6c835e, v34
	v_pk_fma_f32 v[78:79], v[78:79], 2.0, v[30:31] op_sel_hi:[1,0,1] neg_lo:[0,0,1] neg_hi:[0,0,1]
	v_mul_f32_e32 v34, 0x3f3504f3, v96
	v_pk_fma_f32 v[76:77], v[76:77], 2.0, v[84:85] op_sel_hi:[1,0,1] neg_lo:[0,0,1] neg_hi:[0,0,1]
	v_pk_add_f32 v[112:113], v[44:45], v[28:29] neg_lo:[0,1] neg_hi:[0,1]
	v_pk_add_f32 v[76:77], v[78:79], v[76:77] neg_lo:[0,1] neg_hi:[0,1]
	v_pk_add_f32 v[44:45], v[112:113], v[34:35]
	v_pk_add_f32 v[114:115], v[112:113], v[34:35] neg_lo:[0,1] neg_hi:[0,1]
	v_pk_add_f32 v[98:99], v[40:41], v[38:39]
	v_mov_b32_e32 v45, v115
	v_mov_b32_e32 v39, v77
	v_pk_add_f32 v[116:117], v[44:45], v[38:39] neg_lo:[0,1] neg_hi:[0,1]
	v_pk_fma_f32 v[44:45], v[78:79], 2.0, v[76:77] op_sel_hi:[1,0,1] neg_lo:[0,0,1] neg_hi:[0,0,1]
	v_fma_f32 v75, v83, 2.0, -v91
	v_mov_b32_e32 v99, v91
	v_mov_b32_e32 v91, v89
	v_add_f32_e32 v46, v113, v113
	v_mov_b32_e32 v28, v45
	v_mov_b32_e32 v113, v115
	v_pk_fma_f32 v[110:111], v[90:91], 2.0, v[96:97] op_sel_hi:[1,0,1] neg_lo:[0,0,1] neg_hi:[0,0,1]
	v_pk_add_f32 v[38:39], v[44:45], v[28:29] neg_lo:[0,1] neg_hi:[0,1]
	v_pk_fma_f32 v[90:91], v[112:113], 2.0, v[116:117] op_sel_hi:[1,0,1] neg_lo:[0,0,1] neg_hi:[0,0,1]
	v_mov_b32_e32 v28, v29
	v_mov_b32_e32 v29, v30
	v_mov_b32_e32 v113, v40
	v_pk_fma_f32 v[28:29], v[28:29], 2.0, v[112:113] op_sel_hi:[1,0,1] neg_lo:[0,0,1] neg_hi:[0,0,1]
	v_mov_b32_e32 v35, v76
	v_pk_fma_f32 v[30:31], v[110:111], s[14:15], v[28:29] op_sel_hi:[1,0,1] neg_lo:[1,0,0] neg_hi:[1,0,0]
	v_pk_add_f32 v[88:89], v[34:35], v[98:99]
	v_mov_b32_e32 v34, v31
	v_mov_b32_e32 v95, v74
	v_pk_mul_f32 v[96:97], v[110:111], s[14:15] op_sel_hi:[1,0]
	v_mov_b32_e32 v41, v76
	v_pk_fma_f32 v[34:35], v[110:111], s[14:15], v[34:35] op_sel_hi:[1,0,1]
	v_pk_fma_f32 v[92:93], v[94:95], 2.0, v[52:53] op_sel_hi:[1,0,1] neg_lo:[0,0,1] neg_hi:[0,0,1]
	v_pk_fma_f32 v[84:85], v[40:41], 2.0, v[88:89] op_sel_hi:[1,0,1] neg_lo:[0,0,1] neg_hi:[0,0,1]
	v_mov_b32_e32 v114, v97
	v_mov_b32_e32 v31, v46
	;; [unrolled: 1-line block ×3, first 2 shown]
	v_pk_mul_f32 v[32:33], v[92:93], s[12:13]
	v_mul_f32_e32 v74, 0x3ec3ef15, v51
	v_pk_fma_f32 v[78:79], v[92:93], s[12:13], v[84:85] neg_lo:[1,0,0] neg_hi:[1,0,0]
	v_pk_add_f32 v[30:31], v[30:31], v[114:115] neg_lo:[0,1] neg_hi:[0,1]
	v_mov_b32_e32 v93, v34
	v_pk_add_f32 v[40:41], v[34:35], v[86:87]
	v_pk_add_f32 v[34:35], v[46:47], v[86:87] neg_lo:[0,1] neg_hi:[0,1]
	v_add_f32_e32 v81, v47, v47
	v_mul_f32_e32 v32, 0x3f6c835e, v92
	v_pk_mul_f32 v[106:107], v[36:37], s[12:13]
	v_mov_b32_e32 v92, v30
	v_add_f32_e32 v77, v31, v31
	v_pk_add_f32 v[86:87], v[30:31], v[74:75]
	v_pk_add_f32 v[46:47], v[30:31], v[74:75] neg_lo:[0,1] neg_hi:[0,1]
	v_mov_b32_e32 v30, 0x3ec3ef15
	v_mov_b32_e32 v31, v35
	v_pk_mul_f32 v[108:109], v[52:53], s[10:11]
	v_mul_f32_e32 v106, 0x3f6c835e, v36
	v_mov_b32_e32 v41, v35
	v_pk_mul_f32 v[30:31], v[80:81], v[30:31]
	v_pk_add_f32 v[34:35], v[80:81], v[34:35] neg_lo:[0,1] neg_hi:[0,1]
	v_fma_f32 v104, v54, 2.0, -v51
	v_mul_f32_e32 v108, 0x3ec3ef15, v52
	v_pk_fma_f32 v[96:97], v[28:29], 2.0, v[92:93] op_sel_hi:[1,0,1] neg_lo:[0,0,1] neg_hi:[0,0,1]
	v_mov_b32_e32 v31, v35
	v_pk_add_f32 v[34:35], v[116:117], v[106:107]
	v_mul_f32_e32 v54, 0x3f6c835e, v104
	v_pk_mul_f32 v[94:95], v[48:49], s[10:11]
	v_mov_b32_e32 v76, v96
	v_mov_b32_e32 v55, v47
	v_pk_add_f32 v[74:75], v[34:35], v[108:109] neg_lo:[0,1] neg_hi:[0,1]
	v_pk_fma_f32 v[34:35], v[52:53], s[10:11], v[88:89]
	v_mul_f32_e32 v94, 0x3ec3ef15, v48
	v_fma_f32 v44, v44, 2.0, -v38
	v_pk_add_f32 v[54:55], v[76:77], v[54:55] neg_lo:[0,1] neg_hi:[0,1]
	v_pk_fma_f32 v[76:77], v[36:37], s[12:13], v[34:35]
	v_add_f32_e32 v45, v116, v116
	v_mov_b32_e32 v51, v74
	v_pk_add_f32 v[94:95], v[90:91], v[94:95] neg_lo:[0,1] neg_hi:[0,1]
	v_fmamk_f32 v29, v80, 0xbf6c835e, v97
	v_mov_b32_e32 v87, v47
	v_pk_add_f32 v[30:31], v[54:55], v[30:31] neg_lo:[0,1] neg_hi:[0,1]
	v_mov_b32_e32 v83, v38
	v_mov_b32_e32 v98, v117
	;; [unrolled: 1-line block ×5, first 2 shown]
	v_pk_add_f32 v[34:35], v[44:45], v[50:51] neg_lo:[0,1] neg_hi:[0,1]
	s_and_saveexec_b64 s[12:13], s[0:1]
	s_xor_b64 s[12:13], exec, s[12:13]
; %bb.6:
                                        ; implicit-def: $vgpr38_vgpr39
                                        ; implicit-def: $vgpr44
                                        ; implicit-def: $vgpr84_vgpr85
                                        ; implicit-def: $vgpr90_vgpr91
                                        ; implicit-def: $vgpr96_vgpr97
                                        ; implicit-def: $vgpr46_vgpr47
                                        ; implicit-def: $vgpr54_vgpr55
                                        ; implicit-def: $vgpr92_vgpr93
; %bb.7:
	s_or_saveexec_b64 s[12:13], s[12:13]
	v_lshl_add_u64 v[50:51], s[8:9], 0, v[70:71]
	v_pk_add_f32 v[36:37], v[94:95], v[32:33] neg_lo:[0,1] neg_hi:[0,1]
	v_pk_fma_f32 v[80:81], v[48:49], s[10:11], v[78:79]
	v_fmac_f32_e32 v29, 0x3ec3ef15, v104
	v_pk_add_f32 v[32:33], v[86:87], v[42:43] neg_lo:[0,1] neg_hi:[0,1]
	v_pk_add_f32 v[78:79], v[82:83], v[40:41]
	v_pk_fma_f32 v[40:41], v[98:99], 2.0, v[52:53] op_sel_hi:[1,0,1] neg_lo:[0,0,1] neg_hi:[0,0,1]
	v_fma_f32 v43, v88, 2.0, -v76
	s_xor_b64 exec, exec, s[12:13]
	s_cbranch_execz .LBB0_9
; %bb.8:
	v_mov_b32_e32 v48, v55
	v_mov_b32_e32 v49, v44
	;; [unrolled: 1-line block ×5, first 2 shown]
	v_pk_fma_f32 v[48:49], v[48:49], 2.0, v[44:45] op_sel_hi:[1,0,1] neg_lo:[0,0,1] neg_hi:[0,0,1]
	v_pk_fma_f32 v[54:55], v[96:97], 2.0, v[28:29] op_sel_hi:[1,0,1] neg_lo:[0,0,1] neg_hi:[0,0,1]
	ds_write2_b64 v101, v[48:49], v[54:55] offset1:6
	v_mov_b32_e32 v48, v91
	v_mov_b32_e32 v49, v85
	;; [unrolled: 1-line block ×11, first 2 shown]
	v_pk_fma_f32 v[48:49], v[48:49], 2.0, v[54:55] op_sel_hi:[1,0,1] neg_lo:[0,0,1] neg_hi:[0,0,1]
	v_pk_fma_f32 v[84:85], v[90:91], 2.0, v[82:83] op_sel_hi:[1,0,1] neg_lo:[0,0,1] neg_hi:[0,0,1]
	;; [unrolled: 1-line block ×3, first 2 shown]
	ds_write2_b64 v101, v[48:49], v[84:85] offset0:12 offset1:18
	ds_write_b64 v101, v[46:47] offset:192
	v_mov_b32_e32 v46, v32
	v_mov_b32_e32 v47, v78
	v_pk_fma_f32 v[48:49], v[92:93], 2.0, v[46:47] op_sel_hi:[1,0,1] neg_lo:[0,0,1] neg_hi:[0,0,1]
	v_mov_b32_e32 v42, v35
	ds_write2_b64 v100, v[48:49], v[40:41] offset0:30 offset1:36
	ds_write2_b64 v100, v[42:43], v[44:45] offset0:42 offset1:48
	;; [unrolled: 1-line block ×5, first 2 shown]
	v_mov_b32_e32 v38, v74
	v_mov_b32_e32 v39, v76
	ds_write_b64 v100, v[38:39] offset:720
.LBB0_9:
	s_or_b64 exec, exec, s[12:13]
	s_waitcnt lgkmcnt(0)
	s_barrier
	global_load_dwordx2 v[38:39], v[50:51], off offset:768
	s_add_u32 s8, s8, 0x300
	s_addc_u32 s9, s9, 0
	global_load_dwordx2 v[48:49], v70, s[8:9] offset:128
	global_load_dwordx2 v[50:51], v70, s[8:9] offset:256
	global_load_dwordx2 v[52:53], v70, s[8:9] offset:384
	global_load_dwordx2 v[54:55], v70, s[8:9] offset:512
	global_load_dwordx2 v[82:83], v70, s[8:9] offset:640
	ds_read2_b64 v[44:47], v101 offset1:16
	v_lshl_add_u32 v70, v103, 3, v70
	s_mov_b32 s12, 0x3f5db3d7
	s_mov_b32 s8, -0.5
	s_mov_b32 s10, 0xbf5db3d7
	s_mov_b32 s11, s8
	;; [unrolled: 1-line block ×3, first 2 shown]
	s_waitcnt vmcnt(5) lgkmcnt(0)
	v_mul_f32_e32 v28, v45, v39
	v_mul_f32_e32 v85, v44, v39
	v_fma_f32 v84, v44, v38, -v28
	s_waitcnt vmcnt(4)
	v_mul_f32_e32 v28, v47, v49
	v_mul_f32_e32 v39, v46, v49
	v_fmac_f32_e32 v85, v45, v38
	v_fma_f32 v38, v46, v48, -v28
	v_fmac_f32_e32 v39, v47, v48
	ds_write2_b64 v101, v[84:85], v[38:39] offset1:16
	ds_read2_b64 v[44:47], v100 offset0:32 offset1:64
	ds_read_b64 v[38:39], v70 offset:384
	ds_read_b64 v[48:49], v100 offset:640
	s_waitcnt vmcnt(3) lgkmcnt(2)
	v_mul_f32_e32 v28, v45, v51
	v_mul_f32_e32 v85, v44, v51
	s_waitcnt vmcnt(2) lgkmcnt(1)
	v_mul_f32_e32 v42, v39, v53
	v_mul_f32_e32 v51, v38, v53
	s_waitcnt vmcnt(1)
	v_mul_f32_e32 v71, v47, v55
	v_mul_f32_e32 v53, v46, v55
	s_waitcnt vmcnt(0) lgkmcnt(0)
	v_mul_f32_e32 v86, v49, v83
	v_mul_f32_e32 v55, v48, v83
	v_fma_f32 v84, v44, v50, -v28
	v_fmac_f32_e32 v85, v45, v50
	v_fma_f32 v50, v38, v52, -v42
	v_fmac_f32_e32 v51, v39, v52
	;; [unrolled: 2-line block ×4, first 2 shown]
	ds_write_b64 v70, v[50:51] offset:384
	ds_write2_b64 v100, v[84:85], v[52:53] offset0:32 offset1:64
	ds_write_b64 v100, v[54:55] offset:640
	s_waitcnt lgkmcnt(0)
	s_barrier
	ds_read2_b64 v[44:47], v101 offset1:16
	ds_read_b64 v[38:39], v100 offset:640
	ds_read_b64 v[52:53], v70 offset:384
	ds_read2_b64 v[48:51], v100 offset0:32 offset1:64
	s_waitcnt lgkmcnt(0)
	s_barrier
	v_pk_add_f32 v[54:55], v[52:53], v[38:39]
	v_pk_add_f32 v[82:83], v[52:53], v[38:39] neg_lo:[0,1] neg_hi:[0,1]
	v_pk_add_f32 v[52:53], v[46:47], v[52:53]
	v_pk_add_f32 v[84:85], v[48:49], v[50:51]
	v_pk_add_f32 v[86:87], v[48:49], v[50:51] neg_lo:[0,1] neg_hi:[0,1]
	v_fma_f32 v28, -0.5, v54, v46
	v_fma_f32 v42, -0.5, v55, v47
	v_pk_add_f32 v[48:49], v[44:45], v[48:49]
	v_pk_add_f32 v[54:55], v[52:53], v[38:39]
	v_pk_fma_f32 v[38:39], -0.5, v[84:85], v[44:45] op_sel_hi:[0,1,1]
	v_pk_mul_f32 v[44:45], v[86:87], s[12:13] op_sel_hi:[1,0]
	v_fmamk_f32 v53, v83, 0xbf5db3d7, v28
	v_fmamk_f32 v71, v82, 0x3f5db3d7, v42
	v_pk_add_f32 v[46:47], v[48:49], v[50:51]
	v_fmac_f32_e32 v28, 0x3f5db3d7, v83
	v_fmac_f32_e32 v42, 0xbf5db3d7, v82
	v_mov_b32_e32 v50, v38
	v_mov_b32_e32 v52, v44
	;; [unrolled: 1-line block ×3, first 2 shown]
	v_pk_add_f32 v[84:85], v[38:39], v[44:45] op_sel:[0,1] op_sel_hi:[1,0]
	v_pk_add_f32 v[38:39], v[38:39], v[44:45] op_sel:[0,1] op_sel_hi:[1,0] neg_lo:[0,1] neg_hi:[0,1]
	v_mul_f32_e32 v51, 0.5, v53
	v_mul_f32_e32 v53, 0x3f5db3d7, v53
	v_mul_f32_e32 v83, 0.5, v71
	v_mov_b32_e32 v48, v45
	v_pk_add_f32 v[44:45], v[46:47], v[54:55]
	v_mov_b32_e32 v87, v46
	v_mov_b32_e32 v90, v47
	v_mul_f32_e32 v49, 0x3f5db3d7, v71
	v_mov_b32_e32 v85, v39
	v_pk_mul_f32 v[38:39], v[42:43], s[10:11] op_sel_hi:[0,1]
	v_pk_add_f32 v[46:47], v[52:53], v[82:83]
	v_mov_b32_e32 v89, v54
	v_pk_add_f32 v[48:49], v[50:51], v[48:49] neg_lo:[0,1] neg_hi:[0,1]
	v_pk_fma_f32 v[38:39], v[28:29], s[8:9], v[38:39] op_sel_hi:[0,1,1]
	v_mov_b32_e32 v86, v46
	v_mov_b32_e32 v88, v47
	v_pk_add_f32 v[52:53], v[84:85], v[38:39]
	v_pk_add_f32 v[50:51], v[84:85], v[38:39] neg_lo:[0,1] neg_hi:[0,1]
	v_mov_b32_e32 v82, v48
	v_mov_b32_e32 v83, v46
	v_mov_b32_e32 v46, v49
	v_pk_add_f32 v[38:39], v[86:87], v[88:89] neg_lo:[0,1] neg_hi:[0,1]
	v_mov_b32_e32 v91, v48
	v_mov_b32_e32 v48, v55
	v_pk_add_f32 v[46:47], v[82:83], v[46:47]
	v_mov_b32_e32 v54, v39
	v_pk_add_f32 v[48:49], v[90:91], v[48:49] neg_lo:[0,1] neg_hi:[0,1]
	ds_write_b128 v102, v[44:47]
	ds_write_b96 v102, v[52:54] offset:16
	ds_write2_b32 v102, v48, v49 offset0:7 offset1:8
	v_mov_b32_e32 v28, v38
	v_mov_b32_e32 v55, v50
	ds_write2_b32 v102, v38, v50 offset0:9 offset1:10
	ds_write_b32 v102, v51 offset:44
	s_waitcnt lgkmcnt(0)
	s_barrier
	s_and_saveexec_b64 s[8:9], s[0:1]
	s_xor_b64 s[0:1], exec, s[8:9]
	s_andn2_saveexec_b64 s[0:1], s[0:1]
	s_cbranch_execz .LBB0_11
; %bb.10:
	ds_read2_b64 v[44:47], v101 offset1:6
	ds_read2_b64 v[52:55], v101 offset0:12 offset1:18
	ds_read2_b64 v[48:51], v101 offset0:24 offset1:30
	ds_read_b64 v[82:83], v70 offset:384
	ds_read_b64 v[74:75], v101 offset:720
	ds_read2_b64 v[32:35], v101 offset0:78 offset1:84
	ds_read2_b64 v[40:43], v101 offset0:36 offset1:42
	;; [unrolled: 1-line block ×4, first 2 shown]
	s_waitcnt lgkmcnt(4)
	v_mov_b32_e32 v76, v75
	s_waitcnt lgkmcnt(3)
	v_mov_b32_e32 v77, v35
	v_mov_b32_e32 v78, v33
	s_waitcnt lgkmcnt(1)
	v_mov_b32_e32 v79, v39
	;; [unrolled: 3-line block ×3, first 2 shown]
	v_mov_b32_e32 v75, v34
	v_mov_b32_e32 v33, v38
	v_mov_b32_e32 v37, v30
	v_mov_b32_e32 v30, v28
	v_mov_b32_e32 v31, v82
	v_mov_b32_e32 v34, v83
	v_mov_b32_e32 v35, v42
	v_mov_b32_e32 v38, v49
	v_mov_b32_e32 v39, v54
	v_mov_b32_e32 v49, v48
	v_mov_b32_e32 v48, v55
.LBB0_11:
	s_or_b64 exec, exec, s[0:1]
	s_and_saveexec_b64 s[0:1], vcc
	s_cbranch_execz .LBB0_13
; %bb.12:
	v_pk_mul_f32 v[84:85], v[6:7], v[40:41] op_sel:[0,1]
	v_pk_mul_f32 v[86:87], v[22:23], v[76:77] op_sel:[0,1]
	v_pk_fma_f32 v[104:105], v[6:7], v[40:41], v[84:85] op_sel:[0,0,1] op_sel_hi:[1,1,0]
	v_pk_fma_f32 v[6:7], v[6:7], v[40:41], v[84:85] op_sel:[0,0,1] op_sel_hi:[1,0,0] neg_lo:[1,0,0] neg_hi:[1,0,0]
	v_pk_mul_f32 v[54:55], v[2:3], v[52:53] op_sel:[0,1]
	v_mov_b32_e32 v105, v7
	v_pk_fma_f32 v[6:7], v[22:23], v[74:75], v[86:87] op_sel:[0,1,1] op_sel_hi:[1,1,0]
	v_pk_fma_f32 v[22:23], v[22:23], v[74:75], v[86:87] op_sel:[0,1,1] op_sel_hi:[1,1,0] neg_lo:[1,0,0] neg_hi:[1,0,0]
	v_pk_mul_f32 v[82:83], v[18:19], v[80:81] op_sel:[0,1]
	v_mov_b32_e32 v7, v23
	v_pk_fma_f32 v[22:23], v[2:3], v[52:53], v[54:55] op_sel:[0,0,1] op_sel_hi:[1,1,0]
	v_pk_fma_f32 v[2:3], v[2:3], v[52:53], v[54:55] op_sel:[0,0,1] op_sel_hi:[1,0,0] neg_lo:[1,0,0] neg_hi:[1,0,0]
	v_mov_b32_e32 v28, v49
	v_mov_b32_e32 v42, v49
	v_pk_mul_f32 v[90:91], v[10:11], v[38:39] op_sel_hi:[1,0]
	v_mov_b32_e32 v23, v3
	v_pk_fma_f32 v[2:3], v[18:19], v[36:37], v[82:83] op_sel:[0,1,1] op_sel_hi:[1,1,0]
	v_pk_fma_f32 v[18:19], v[18:19], v[36:37], v[82:83] op_sel:[0,1,1] op_sel_hi:[1,1,0] neg_lo:[1,0,0] neg_hi:[1,0,0]
	v_pk_mul_f32 v[92:93], v[26:27], v[78:79] op_sel:[0,1]
	v_mov_b32_e32 v3, v19
	v_pk_fma_f32 v[18:19], v[10:11], v[28:29], v[90:91] op_sel:[0,0,1] op_sel_hi:[1,1,0]
	v_pk_fma_f32 v[10:11], v[10:11], v[42:43], v[90:91] op_sel:[0,0,1] op_sel_hi:[1,0,0] neg_lo:[1,0,0] neg_hi:[1,0,0]
	v_pk_mul_f32 v[88:89], v[14:15], v[34:35] op_sel_hi:[1,0]
	v_mov_b32_e32 v19, v11
	v_pk_fma_f32 v[10:11], v[26:27], v[32:33], v[92:93] op_sel:[0,1,1] op_sel_hi:[1,1,0]
	v_pk_fma_f32 v[26:27], v[26:27], v[32:33], v[92:93] op_sel:[0,1,1] op_sel_hi:[1,1,0] neg_lo:[1,0,0] neg_hi:[1,0,0]
	v_mov_b32_e32 v94, v43
	v_mov_b32_e32 v11, v27
	v_pk_fma_f32 v[26:27], v[14:15], v[30:31], v[88:89] op_sel:[0,1,1] op_sel_hi:[1,1,0]
	v_pk_fma_f32 v[14:15], v[14:15], v[30:31], v[88:89] op_sel:[0,1,1] op_sel_hi:[1,1,0] neg_lo:[1,0,0] neg_hi:[1,0,0]
	v_pk_mul_f32 v[94:95], v[12:13], v[94:95] op_sel_hi:[1,0]
	v_mov_b32_e32 v27, v15
	v_pk_mul_f32 v[76:77], v[72:73], v[76:77] op_sel_hi:[1,0]
	v_pk_add_f32 v[14:15], v[44:45], v[26:27] neg_lo:[0,1] neg_hi:[0,1]
	v_pk_fma_f32 v[26:27], v[12:13], v[34:35], v[94:95] op_sel:[0,1,1] op_sel_hi:[1,1,0]
	v_pk_fma_f32 v[12:13], v[12:13], v[34:35], v[94:95] op_sel:[0,1,1] op_sel_hi:[1,1,0] neg_lo:[1,0,0] neg_hi:[1,0,0]
	v_pk_mul_f32 v[48:49], v[8:9], v[48:49] op_sel_hi:[1,0]
	v_mov_b32_e32 v98, v29
	v_mov_b32_e32 v27, v13
	v_pk_fma_f32 v[12:13], v[72:73], v[74:75], v[76:77] op_sel:[0,0,1] op_sel_hi:[1,1,0]
	v_pk_fma_f32 v[28:29], v[72:73], v[74:75], v[76:77] op_sel:[0,0,1] op_sel_hi:[1,0,0] neg_lo:[1,0,0] neg_hi:[1,0,0]
	v_pk_mul_f32 v[80:81], v[24:25], v[80:81] op_sel_hi:[1,0]
	v_mov_b32_e32 v13, v29
	v_pk_fma_f32 v[28:29], v[8:9], v[38:39], v[48:49] op_sel:[0,1,1] op_sel_hi:[1,1,0]
	v_pk_fma_f32 v[8:9], v[8:9], v[38:39], v[48:49] op_sel:[0,1,1] op_sel_hi:[1,1,0] neg_lo:[1,0,0] neg_hi:[1,0,0]
	v_pk_mul_f32 v[102:103], v[4:5], v[50:51] op_sel:[0,1]
	v_mov_b32_e32 v29, v9
	v_pk_fma_f32 v[8:9], v[24:25], v[36:37], v[80:81] op_sel:[0,0,1] op_sel_hi:[1,1,0]
	v_pk_fma_f32 v[24:25], v[24:25], v[36:37], v[80:81] op_sel:[0,0,1] op_sel_hi:[1,0,0] neg_lo:[1,0,0] neg_hi:[1,0,0]
	v_mov_b32_e32 v96, v47
	v_pk_mul_f32 v[78:79], v[20:21], v[78:79] op_sel_hi:[1,0]
	v_mov_b32_e32 v9, v25
	v_pk_fma_f32 v[24:25], v[4:5], v[50:51], v[102:103] op_sel:[0,0,1] op_sel_hi:[1,1,0]
	v_pk_fma_f32 v[4:5], v[4:5], v[50:51], v[102:103] op_sel:[0,0,1] op_sel_hi:[1,0,0] neg_lo:[1,0,0] neg_hi:[1,0,0]
	v_pk_mul_f32 v[96:97], v[0:1], v[96:97] op_sel_hi:[1,0]
	v_mov_b32_e32 v25, v5
	v_pk_fma_f32 v[4:5], v[20:21], v[32:33], v[78:79] op_sel:[0,0,1] op_sel_hi:[1,1,0]
	v_pk_fma_f32 v[20:21], v[20:21], v[32:33], v[78:79] op_sel:[0,0,1] op_sel_hi:[1,0,0] neg_lo:[1,0,0] neg_hi:[1,0,0]
	;; [unrolled: 4-line block ×3, first 2 shown]
	v_pk_add_f32 v[6:7], v[104:105], v[6:7] neg_lo:[0,1] neg_hi:[0,1]
	v_pk_add_f32 v[2:3], v[22:23], v[2:3] neg_lo:[0,1] neg_hi:[0,1]
	v_mov_b32_e32 v21, v1
	v_pk_fma_f32 v[0:1], v[16:17], v[30:31], v[98:99] op_sel:[0,0,1] op_sel_hi:[1,1,0]
	v_pk_fma_f32 v[16:17], v[16:17], v[30:31], v[98:99] op_sel:[0,0,1] op_sel_hi:[1,0,0] neg_lo:[1,0,0] neg_hi:[1,0,0]
	v_pk_add_f32 v[10:11], v[18:19], v[10:11] neg_lo:[0,1] neg_hi:[0,1]
	v_mov_b32_e32 v1, v17
	v_pk_fma_f32 v[16:17], v[22:23], 2.0, v[2:3] op_sel_hi:[1,0,1] neg_lo:[0,0,1] neg_hi:[0,0,1]
	v_pk_fma_f32 v[22:23], v[104:105], 2.0, v[6:7] op_sel_hi:[1,0,1] neg_lo:[0,0,1] neg_hi:[0,0,1]
	v_pk_add_f32 v[32:33], v[2:3], v[6:7] op_sel:[0,1] op_sel_hi:[1,0]
	v_pk_add_f32 v[6:7], v[2:3], v[6:7] op_sel:[0,1] op_sel_hi:[1,0] neg_lo:[0,1] neg_hi:[0,1]
	v_pk_add_f32 v[12:13], v[26:27], v[12:13] neg_lo:[0,1] neg_hi:[0,1]
	v_pk_add_f32 v[8:9], v[28:29], v[8:9] neg_lo:[0,1] neg_hi:[0,1]
	v_pk_fma_f32 v[18:19], v[18:19], 2.0, v[10:11] op_sel_hi:[1,0,1] neg_lo:[0,0,1] neg_hi:[0,0,1]
	v_mov_b32_e32 v33, v7
	v_pk_add_f32 v[6:7], v[14:15], v[10:11] op_sel:[0,1] op_sel_hi:[1,0]
	v_pk_add_f32 v[10:11], v[14:15], v[10:11] op_sel:[0,1] op_sel_hi:[1,0] neg_lo:[0,1] neg_hi:[0,1]
	v_pk_add_f32 v[4:5], v[24:25], v[4:5] neg_lo:[0,1] neg_hi:[0,1]
	v_pk_add_f32 v[0:1], v[20:21], v[0:1] neg_lo:[0,1] neg_hi:[0,1]
	v_pk_fma_f32 v[26:27], v[26:27], 2.0, v[12:13] op_sel_hi:[1,0,1] neg_lo:[0,0,1] neg_hi:[0,0,1]
	v_mov_b32_e32 v7, v11
	v_pk_add_f32 v[10:11], v[8:9], v[12:13] op_sel:[0,1] op_sel_hi:[1,0]
	v_pk_add_f32 v[12:13], v[8:9], v[12:13] op_sel:[0,1] op_sel_hi:[1,0] neg_lo:[0,1] neg_hi:[0,1]
	v_pk_fma_f32 v[30:31], v[44:45], 2.0, v[14:15] op_sel_hi:[1,0,1] neg_lo:[0,0,1] neg_hi:[0,0,1]
	v_pk_fma_f32 v[24:25], v[24:25], 2.0, v[4:5] op_sel_hi:[1,0,1] neg_lo:[0,0,1] neg_hi:[0,0,1]
	v_mov_b32_e32 v11, v13
	v_pk_add_f32 v[12:13], v[0:1], v[4:5] op_sel:[0,1] op_sel_hi:[1,0]
	v_pk_add_f32 v[4:5], v[0:1], v[4:5] op_sel:[0,1] op_sel_hi:[1,0] neg_lo:[0,1] neg_hi:[0,1]
	v_pk_fma_f32 v[2:3], v[2:3], 2.0, v[32:33] op_sel_hi:[1,0,1] neg_lo:[0,0,1] neg_hi:[0,0,1]
	s_mov_b32 s8, 0x3f3504f3
	v_pk_fma_f32 v[14:15], v[14:15], 2.0, v[6:7] op_sel_hi:[1,0,1] neg_lo:[0,0,1] neg_hi:[0,0,1]
	v_mov_b32_e32 v13, v5
	v_pk_mul_f32 v[4:5], v[2:3], s[8:9] op_sel_hi:[1,0]
	v_pk_fma_f32 v[2:3], v[2:3], s[8:9], v[14:15] op_sel_hi:[1,0,1] neg_lo:[1,0,0] neg_hi:[1,0,0]
	v_pk_fma_f32 v[20:21], v[20:21], 2.0, v[0:1] op_sel_hi:[1,0,1] neg_lo:[0,0,1] neg_hi:[0,0,1]
	v_pk_add_f32 v[34:35], v[2:3], v[4:5] op_sel:[0,1] op_sel_hi:[1,0]
	v_pk_add_f32 v[2:3], v[2:3], v[4:5] op_sel:[0,1] op_sel_hi:[1,0] neg_lo:[0,1] neg_hi:[0,1]
	v_pk_fma_f32 v[4:5], v[8:9], 2.0, v[10:11] op_sel_hi:[1,0,1] neg_lo:[0,0,1] neg_hi:[0,0,1]
	v_pk_fma_f32 v[0:1], v[0:1], 2.0, v[12:13] op_sel_hi:[1,0,1] neg_lo:[0,0,1] neg_hi:[0,0,1]
	;; [unrolled: 1-line block ×3, first 2 shown]
	v_pk_mul_f32 v[8:9], v[4:5], s[8:9] op_sel_hi:[1,0]
	v_pk_fma_f32 v[4:5], v[4:5], s[8:9], v[0:1] op_sel_hi:[1,0,1] neg_lo:[1,0,0] neg_hi:[1,0,0]
	v_pk_add_f32 v[22:23], v[16:17], v[22:23] neg_lo:[0,1] neg_hi:[0,1]
	v_pk_add_f32 v[36:37], v[4:5], v[8:9] op_sel:[0,1] op_sel_hi:[1,0]
	v_pk_add_f32 v[4:5], v[4:5], v[8:9] op_sel:[0,1] op_sel_hi:[1,0] neg_lo:[0,1] neg_hi:[0,1]
	v_pk_add_f32 v[18:19], v[30:31], v[18:19] neg_lo:[0,1] neg_hi:[0,1]
	v_pk_add_f32 v[26:27], v[28:29], v[26:27] neg_lo:[0,1] neg_hi:[0,1]
	;; [unrolled: 1-line block ×3, first 2 shown]
	v_mov_b32_e32 v35, v3
	v_mov_b32_e32 v37, v5
	v_fmamk_f32 v8, v36, 0x3ec3ef15, v34
	v_pk_fma_f32 v[30:31], v[30:31], 2.0, v[18:19] op_sel_hi:[1,0,1] neg_lo:[0,0,1] neg_hi:[0,0,1]
	v_pk_fma_f32 v[16:17], v[16:17], 2.0, v[22:23] op_sel_hi:[1,0,1] neg_lo:[0,0,1] neg_hi:[0,0,1]
	;; [unrolled: 1-line block ×4, first 2 shown]
	s_mov_b32 s10, 0x3ec3ef15
	v_fmamk_f32 v2, v5, 0x3ec3ef15, v3
	s_mov_b32 s12, 0x3f6c835e
	v_fmac_f32_e32 v8, 0x3f6c835e, v5
	v_pk_fma_f32 v[0:1], v[0:1], 2.0, v[36:37] op_sel_hi:[1,0,1] neg_lo:[0,0,1] neg_hi:[0,0,1]
	v_pk_fma_f32 v[4:5], v[14:15], 2.0, v[34:35] op_sel_hi:[1,0,1] neg_lo:[0,0,1] neg_hi:[0,0,1]
	v_pk_add_f32 v[16:17], v[30:31], v[16:17] neg_lo:[0,1] neg_hi:[0,1]
	v_pk_add_f32 v[28:29], v[20:21], v[28:29] neg_lo:[0,1] neg_hi:[0,1]
	v_pk_mul_f32 v[14:15], v[0:1], s[10:11] op_sel_hi:[1,0]
	v_pk_fma_f32 v[0:1], v[0:1], s[12:13], v[4:5] op_sel_hi:[1,0,1] neg_lo:[1,0,0] neg_hi:[1,0,0]
	v_pk_fma_f32 v[30:31], v[30:31], 2.0, v[16:17] op_sel_hi:[1,0,1] neg_lo:[0,0,1] neg_hi:[0,0,1]
	v_pk_fma_f32 v[20:21], v[20:21], 2.0, v[28:29] op_sel_hi:[1,0,1] neg_lo:[0,0,1] neg_hi:[0,0,1]
	v_fmamk_f32 v9, v36, 0xbf6c835e, v2
	v_fma_f32 v2, v34, 2.0, -v8
	v_pk_add_f32 v[34:35], v[0:1], v[14:15] op_sel:[0,1] op_sel_hi:[1,0]
	v_pk_add_f32 v[0:1], v[0:1], v[14:15] op_sel:[0,1] op_sel_hi:[1,0] neg_lo:[0,1] neg_hi:[0,1]
	v_pk_add_f32 v[20:21], v[30:31], v[20:21] neg_lo:[0,1] neg_hi:[0,1]
	v_mov_b32_e32 v35, v1
	v_pk_fma_f32 v[30:31], v[30:31], 2.0, v[20:21] op_sel_hi:[1,0,1] neg_lo:[0,0,1] neg_hi:[0,0,1]
	v_pk_fma_f32 v[0:1], v[4:5], 2.0, v[34:35] op_sel_hi:[1,0,1] neg_lo:[0,0,1] neg_hi:[0,0,1]
	ds_write2_b64 v101, v[30:31], v[0:1] offset1:6
	v_pk_add_f32 v[0:1], v[18:19], v[22:23] op_sel:[0,1] op_sel_hi:[1,0]
	v_pk_add_f32 v[4:5], v[18:19], v[22:23] op_sel:[0,1] op_sel_hi:[1,0] neg_lo:[0,1] neg_hi:[0,1]
	v_pk_add_f32 v[14:15], v[24:25], v[26:27] op_sel:[0,1] op_sel_hi:[1,0] neg_lo:[0,1] neg_hi:[0,1]
	v_mov_b32_e32 v1, v5
	v_pk_add_f32 v[4:5], v[24:25], v[26:27] op_sel:[0,1] op_sel_hi:[1,0]
	v_pk_fma_f32 v[18:19], v[18:19], 2.0, v[0:1] op_sel_hi:[1,0,1] neg_lo:[0,0,1] neg_hi:[0,0,1]
	v_mov_b32_e32 v5, v15
	v_pk_fma_f32 v[14:15], v[24:25], 2.0, v[4:5] op_sel_hi:[1,0,1] neg_lo:[0,0,1] neg_hi:[0,0,1]
	v_fma_f32 v3, v3, 2.0, -v9
	v_pk_mul_f32 v[22:23], v[14:15], s[8:9] op_sel_hi:[1,0]
	v_pk_fma_f32 v[14:15], v[14:15], s[8:9], v[18:19] op_sel_hi:[1,0,1] neg_lo:[1,0,0] neg_hi:[1,0,0]
	s_nop 0
	v_pk_add_f32 v[24:25], v[14:15], v[22:23] op_sel:[0,1] op_sel_hi:[1,0]
	v_pk_add_f32 v[14:15], v[14:15], v[22:23] op_sel:[0,1] op_sel_hi:[1,0] neg_lo:[0,1] neg_hi:[0,1]
	v_pk_fma_f32 v[22:23], v[32:33], s[8:9], v[6:7] op_sel_hi:[1,0,1]
	v_mov_b32_e32 v25, v15
	v_pk_fma_f32 v[14:15], v[18:19], 2.0, v[24:25] op_sel_hi:[1,0,1] neg_lo:[0,0,1] neg_hi:[0,0,1]
	v_pk_mul_f32 v[18:19], v[32:33], s[8:9] op_sel_hi:[1,0]
	s_nop 0
	v_pk_add_f32 v[26:27], v[22:23], v[18:19] op_sel:[0,1] op_sel_hi:[1,0]
	v_pk_add_f32 v[18:19], v[22:23], v[18:19] op_sel:[0,1] op_sel_hi:[1,0] neg_lo:[0,1] neg_hi:[0,1]
	v_pk_mul_f32 v[22:23], v[10:11], s[8:9] op_sel_hi:[1,0]
	v_pk_fma_f32 v[10:11], v[10:11], s[8:9], v[12:13] op_sel_hi:[1,0,1]
	v_mov_b32_e32 v27, v19
	v_pk_add_f32 v[30:31], v[10:11], v[22:23] op_sel:[0,1] op_sel_hi:[1,0]
	v_pk_add_f32 v[10:11], v[10:11], v[22:23] op_sel:[0,1] op_sel_hi:[1,0] neg_lo:[0,1] neg_hi:[0,1]
	v_fmamk_f32 v22, v30, 0x3f6c835e, v26
	v_mov_b32_e32 v31, v11
	v_fmamk_f32 v10, v11, 0x3f6c835e, v19
	v_fmamk_f32 v23, v30, 0xbec3ef15, v10
	v_fmac_f32_e32 v22, 0x3ec3ef15, v11
	v_pk_fma_f32 v[10:11], v[12:13], 2.0, v[30:31] op_sel_hi:[1,0,1] neg_lo:[0,0,1] neg_hi:[0,0,1]
	v_pk_fma_f32 v[6:7], v[6:7], 2.0, v[26:27] op_sel_hi:[1,0,1] neg_lo:[0,0,1] neg_hi:[0,0,1]
	v_pk_mul_f32 v[12:13], v[10:11], s[12:13] op_sel_hi:[1,0]
	v_pk_fma_f32 v[10:11], v[10:11], s[10:11], v[6:7] op_sel_hi:[1,0,1] neg_lo:[1,0,0] neg_hi:[1,0,0]
	v_fma_f32 v18, v26, 2.0, -v22
	v_pk_add_f32 v[26:27], v[10:11], v[12:13] op_sel:[0,1] op_sel_hi:[1,0]
	v_pk_add_f32 v[10:11], v[10:11], v[12:13] op_sel:[0,1] op_sel_hi:[1,0] neg_lo:[0,1] neg_hi:[0,1]
	v_fma_f32 v19, v19, 2.0, -v23
	v_mov_b32_e32 v27, v11
	v_pk_fma_f32 v[6:7], v[6:7], 2.0, v[26:27] op_sel_hi:[1,0,1] neg_lo:[0,0,1] neg_hi:[0,0,1]
	ds_write2_b64 v101, v[14:15], v[6:7] offset0:12 offset1:18
	v_pk_add_f32 v[6:7], v[16:17], v[28:29] op_sel:[0,1] op_sel_hi:[1,0]
	v_pk_add_f32 v[10:11], v[16:17], v[28:29] op_sel:[0,1] op_sel_hi:[1,0] neg_lo:[0,1] neg_hi:[0,1]
	s_nop 0
	v_mov_b32_e32 v7, v11
	v_pk_fma_f32 v[10:11], v[16:17], 2.0, v[6:7] op_sel_hi:[1,0,1] neg_lo:[0,0,1] neg_hi:[0,0,1]
	ds_write_b64 v101, v[10:11] offset:192
	v_pk_mul_f32 v[10:11], v[4:5], s[8:9] op_sel_hi:[1,0]
	v_pk_fma_f32 v[4:5], v[4:5], s[8:9], v[0:1] op_sel_hi:[1,0,1]
	s_nop 0
	v_pk_add_f32 v[12:13], v[4:5], v[10:11] op_sel:[0,1] op_sel_hi:[1,0]
	v_pk_add_f32 v[4:5], v[4:5], v[10:11] op_sel:[0,1] op_sel_hi:[1,0] neg_lo:[0,1] neg_hi:[0,1]
	s_nop 0
	v_mov_b32_e32 v13, v5
	v_pk_fma_f32 v[0:1], v[0:1], 2.0, v[12:13] op_sel_hi:[1,0,1] neg_lo:[0,0,1] neg_hi:[0,0,1]
	ds_write2_b64 v100, v[2:3], v[0:1] offset0:30 offset1:36
	ds_write_b64 v100, v[18:19] offset:336
	ds_write_b64 v70, v[20:21] offset:384
	ds_write2_b64 v100, v[34:35], v[24:25] offset0:54 offset1:60
	ds_write2_b64 v100, v[26:27], v[6:7] offset0:66 offset1:72
	;; [unrolled: 1-line block ×3, first 2 shown]
	ds_write_b64 v100, v[22:23] offset:720
.LBB0_13:
	s_or_b64 exec, exec, s[0:1]
	s_waitcnt lgkmcnt(0)
	s_barrier
	ds_read2_b64 v[0:3], v101 offset1:16
	v_mad_u64_u32 v[6:7], s[0:1], s6, v62, 0
	v_mov_b32_e32 v8, v7
	v_mad_u64_u32 v[8:9], s[0:1], s7, v62, v[8:9]
	v_mov_b32_e32 v7, v8
	s_waitcnt lgkmcnt(0)
	v_mul_f32_e32 v8, v69, v1
	v_fmac_f32_e32 v8, v68, v0
	v_mul_f32_e32 v0, v69, v0
	s_mov_b32 s0, 0x55555555
	v_fma_f32 v0, v68, v1, -v0
	v_cvt_f64_f32_e32 v[8:9], v8
	s_mov_b32 s1, 0x3f855555
	v_cvt_f64_f32_e32 v[0:1], v0
	v_mul_f64 v[8:9], v[8:9], s[0:1]
	v_mul_f64 v[0:1], v[0:1], s[0:1]
	v_mov_b32_e32 v4, s2
	v_mov_b32_e32 v5, s3
	v_cvt_f32_f64_e32 v8, v[8:9]
	v_cvt_f32_f64_e32 v9, v[0:1]
	v_mad_u64_u32 v[0:1], s[2:3], s4, v63, 0
	v_mov_b32_e32 v10, v1
	v_mad_u64_u32 v[10:11], s[2:3], s5, v63, v[10:11]
	v_mov_b32_e32 v1, v10
	v_lshl_add_u64 v[4:5], v[6:7], 3, v[4:5]
	v_lshl_add_u64 v[4:5], v[0:1], 3, v[4:5]
	v_mul_f32_e32 v0, v67, v3
	v_fmac_f32_e32 v0, v66, v2
	v_cvt_f64_f32_e32 v[0:1], v0
	v_mul_f64 v[0:1], v[0:1], s[0:1]
	v_cvt_f32_f64_e32 v6, v[0:1]
	v_mul_f32_e32 v0, v67, v2
	v_fma_f32 v0, v66, v3, -v0
	v_cvt_f64_f32_e32 v[0:1], v0
	global_store_dwordx2 v[4:5], v[8:9], off
	v_mul_f64 v[8:9], v[0:1], s[0:1]
	ds_read2_b64 v[0:3], v100 offset0:32 offset1:64
	s_lshl_b64 s[2:3], s[4:5], 7
	v_cvt_f32_f64_e32 v7, v[8:9]
	v_lshl_add_u64 v[4:5], v[4:5], 0, s[2:3]
	global_store_dwordx2 v[4:5], v[6:7], off
	s_waitcnt lgkmcnt(0)
	v_mul_f32_e32 v6, v65, v1
	v_fmac_f32_e32 v6, v64, v0
	v_mul_f32_e32 v0, v65, v0
	ds_read_b64 v[8:9], v70 offset:384
	v_fma_f32 v0, v64, v1, -v0
	v_cvt_f64_f32_e32 v[6:7], v6
	v_cvt_f64_f32_e32 v[0:1], v0
	v_mul_f64 v[6:7], v[6:7], s[0:1]
	v_mul_f64 v[0:1], v[0:1], s[0:1]
	v_cvt_f32_f64_e32 v6, v[6:7]
	v_cvt_f32_f64_e32 v7, v[0:1]
	v_lshl_add_u64 v[0:1], v[4:5], 0, s[2:3]
	ds_read_b64 v[4:5], v100 offset:640
	global_store_dwordx2 v[0:1], v[6:7], off
	s_waitcnt lgkmcnt(1)
	v_mul_f32_e32 v6, v61, v9
	v_fmac_f32_e32 v6, v60, v8
	v_cvt_f64_f32_e32 v[6:7], v6
	v_mul_f64 v[6:7], v[6:7], s[0:1]
	v_cvt_f32_f64_e32 v6, v[6:7]
	v_mul_f32_e32 v7, v61, v8
	v_fma_f32 v7, v60, v9, -v7
	v_cvt_f64_f32_e32 v[8:9], v7
	v_mul_f64 v[8:9], v[8:9], s[0:1]
	v_cvt_f32_f64_e32 v7, v[8:9]
	v_lshl_add_u64 v[0:1], v[0:1], 0, s[2:3]
	global_store_dwordx2 v[0:1], v[6:7], off
	v_mul_f32_e32 v6, v59, v3
	v_fmac_f32_e32 v6, v58, v2
	v_mul_f32_e32 v2, v59, v2
	v_fma_f32 v2, v58, v3, -v2
	v_cvt_f64_f32_e32 v[6:7], v6
	v_cvt_f64_f32_e32 v[2:3], v2
	v_mul_f64 v[6:7], v[6:7], s[0:1]
	v_mul_f64 v[2:3], v[2:3], s[0:1]
	v_cvt_f32_f64_e32 v6, v[6:7]
	v_cvt_f32_f64_e32 v7, v[2:3]
	s_waitcnt lgkmcnt(0)
	v_mul_f32_e32 v2, v57, v5
	v_fmac_f32_e32 v2, v56, v4
	v_cvt_f64_f32_e32 v[2:3], v2
	v_mul_f64 v[2:3], v[2:3], s[0:1]
	v_cvt_f32_f64_e32 v2, v[2:3]
	v_mul_f32_e32 v3, v57, v4
	v_fma_f32 v3, v56, v5, -v3
	v_cvt_f64_f32_e32 v[4:5], v3
	v_lshl_add_u64 v[0:1], v[0:1], 0, s[2:3]
	v_mul_f64 v[4:5], v[4:5], s[0:1]
	global_store_dwordx2 v[0:1], v[6:7], off
	v_cvt_f32_f64_e32 v3, v[4:5]
	v_lshl_add_u64 v[0:1], v[0:1], 0, s[2:3]
	global_store_dwordx2 v[0:1], v[2:3], off
.LBB0_14:
	s_endpgm
	.section	.rodata,"a",@progbits
	.p2align	6, 0x0
	.amdhsa_kernel bluestein_single_fwd_len96_dim1_sp_op_CI_CI
		.amdhsa_group_segment_fixed_size 6144
		.amdhsa_private_segment_fixed_size 0
		.amdhsa_kernarg_size 104
		.amdhsa_user_sgpr_count 2
		.amdhsa_user_sgpr_dispatch_ptr 0
		.amdhsa_user_sgpr_queue_ptr 0
		.amdhsa_user_sgpr_kernarg_segment_ptr 1
		.amdhsa_user_sgpr_dispatch_id 0
		.amdhsa_user_sgpr_kernarg_preload_length 0
		.amdhsa_user_sgpr_kernarg_preload_offset 0
		.amdhsa_user_sgpr_private_segment_size 0
		.amdhsa_uses_dynamic_stack 0
		.amdhsa_enable_private_segment 0
		.amdhsa_system_sgpr_workgroup_id_x 1
		.amdhsa_system_sgpr_workgroup_id_y 0
		.amdhsa_system_sgpr_workgroup_id_z 0
		.amdhsa_system_sgpr_workgroup_info 0
		.amdhsa_system_vgpr_workitem_id 0
		.amdhsa_next_free_vgpr 128
		.amdhsa_next_free_sgpr 20
		.amdhsa_accum_offset 128
		.amdhsa_reserve_vcc 1
		.amdhsa_float_round_mode_32 0
		.amdhsa_float_round_mode_16_64 0
		.amdhsa_float_denorm_mode_32 3
		.amdhsa_float_denorm_mode_16_64 3
		.amdhsa_dx10_clamp 1
		.amdhsa_ieee_mode 1
		.amdhsa_fp16_overflow 0
		.amdhsa_tg_split 0
		.amdhsa_exception_fp_ieee_invalid_op 0
		.amdhsa_exception_fp_denorm_src 0
		.amdhsa_exception_fp_ieee_div_zero 0
		.amdhsa_exception_fp_ieee_overflow 0
		.amdhsa_exception_fp_ieee_underflow 0
		.amdhsa_exception_fp_ieee_inexact 0
		.amdhsa_exception_int_div_zero 0
	.end_amdhsa_kernel
	.text
.Lfunc_end0:
	.size	bluestein_single_fwd_len96_dim1_sp_op_CI_CI, .Lfunc_end0-bluestein_single_fwd_len96_dim1_sp_op_CI_CI
                                        ; -- End function
	.section	.AMDGPU.csdata,"",@progbits
; Kernel info:
; codeLenInByte = 6112
; NumSgprs: 26
; NumVgprs: 128
; NumAgprs: 0
; TotalNumVgprs: 128
; ScratchSize: 0
; MemoryBound: 0
; FloatMode: 240
; IeeeMode: 1
; LDSByteSize: 6144 bytes/workgroup (compile time only)
; SGPRBlocks: 3
; VGPRBlocks: 15
; NumSGPRsForWavesPerEU: 26
; NumVGPRsForWavesPerEU: 128
; AccumOffset: 128
; Occupancy: 4
; WaveLimiterHint : 1
; COMPUTE_PGM_RSRC2:SCRATCH_EN: 0
; COMPUTE_PGM_RSRC2:USER_SGPR: 2
; COMPUTE_PGM_RSRC2:TRAP_HANDLER: 0
; COMPUTE_PGM_RSRC2:TGID_X_EN: 1
; COMPUTE_PGM_RSRC2:TGID_Y_EN: 0
; COMPUTE_PGM_RSRC2:TGID_Z_EN: 0
; COMPUTE_PGM_RSRC2:TIDIG_COMP_CNT: 0
; COMPUTE_PGM_RSRC3_GFX90A:ACCUM_OFFSET: 31
; COMPUTE_PGM_RSRC3_GFX90A:TG_SPLIT: 0
	.text
	.p2alignl 6, 3212836864
	.fill 256, 4, 3212836864
	.type	__hip_cuid_f1dd2ef0d65680e6,@object ; @__hip_cuid_f1dd2ef0d65680e6
	.section	.bss,"aw",@nobits
	.globl	__hip_cuid_f1dd2ef0d65680e6
__hip_cuid_f1dd2ef0d65680e6:
	.byte	0                               ; 0x0
	.size	__hip_cuid_f1dd2ef0d65680e6, 1

	.ident	"AMD clang version 19.0.0git (https://github.com/RadeonOpenCompute/llvm-project roc-6.4.0 25133 c7fe45cf4b819c5991fe208aaa96edf142730f1d)"
	.section	".note.GNU-stack","",@progbits
	.addrsig
	.addrsig_sym __hip_cuid_f1dd2ef0d65680e6
	.amdgpu_metadata
---
amdhsa.kernels:
  - .agpr_count:     0
    .args:
      - .actual_access:  read_only
        .address_space:  global
        .offset:         0
        .size:           8
        .value_kind:     global_buffer
      - .actual_access:  read_only
        .address_space:  global
        .offset:         8
        .size:           8
        .value_kind:     global_buffer
      - .actual_access:  read_only
        .address_space:  global
        .offset:         16
        .size:           8
        .value_kind:     global_buffer
      - .actual_access:  read_only
        .address_space:  global
        .offset:         24
        .size:           8
        .value_kind:     global_buffer
      - .actual_access:  read_only
        .address_space:  global
        .offset:         32
        .size:           8
        .value_kind:     global_buffer
      - .offset:         40
        .size:           8
        .value_kind:     by_value
      - .address_space:  global
        .offset:         48
        .size:           8
        .value_kind:     global_buffer
      - .address_space:  global
        .offset:         56
        .size:           8
        .value_kind:     global_buffer
      - .address_space:  global
        .offset:         64
        .size:           8
        .value_kind:     global_buffer
      - .address_space:  global
        .offset:         72
        .size:           8
        .value_kind:     global_buffer
      - .offset:         80
        .size:           4
        .value_kind:     by_value
      - .address_space:  global
        .offset:         88
        .size:           8
        .value_kind:     global_buffer
      - .address_space:  global
        .offset:         96
        .size:           8
        .value_kind:     global_buffer
    .group_segment_fixed_size: 6144
    .kernarg_segment_align: 8
    .kernarg_segment_size: 104
    .language:       OpenCL C
    .language_version:
      - 2
      - 0
    .max_flat_workgroup_size: 128
    .name:           bluestein_single_fwd_len96_dim1_sp_op_CI_CI
    .private_segment_fixed_size: 0
    .sgpr_count:     26
    .sgpr_spill_count: 0
    .symbol:         bluestein_single_fwd_len96_dim1_sp_op_CI_CI.kd
    .uniform_work_group_size: 1
    .uses_dynamic_stack: false
    .vgpr_count:     128
    .vgpr_spill_count: 0
    .wavefront_size: 64
amdhsa.target:   amdgcn-amd-amdhsa--gfx950
amdhsa.version:
  - 1
  - 2
...

	.end_amdgpu_metadata
